;; amdgpu-corpus repo=ROCm/rocFFT kind=compiled arch=gfx1030 opt=O3
	.text
	.amdgcn_target "amdgcn-amd-amdhsa--gfx1030"
	.amdhsa_code_object_version 6
	.protected	fft_rtc_fwd_len2400_factors_4_10_10_6_wgs_240_tpt_240_halfLds_half_op_CI_CI_unitstride_sbrr_R2C_dirReg ; -- Begin function fft_rtc_fwd_len2400_factors_4_10_10_6_wgs_240_tpt_240_halfLds_half_op_CI_CI_unitstride_sbrr_R2C_dirReg
	.globl	fft_rtc_fwd_len2400_factors_4_10_10_6_wgs_240_tpt_240_halfLds_half_op_CI_CI_unitstride_sbrr_R2C_dirReg
	.p2align	8
	.type	fft_rtc_fwd_len2400_factors_4_10_10_6_wgs_240_tpt_240_halfLds_half_op_CI_CI_unitstride_sbrr_R2C_dirReg,@function
fft_rtc_fwd_len2400_factors_4_10_10_6_wgs_240_tpt_240_halfLds_half_op_CI_CI_unitstride_sbrr_R2C_dirReg: ; @fft_rtc_fwd_len2400_factors_4_10_10_6_wgs_240_tpt_240_halfLds_half_op_CI_CI_unitstride_sbrr_R2C_dirReg
; %bb.0:
	s_clause 0x2
	s_load_dwordx4 s[12:15], s[4:5], 0x0
	s_load_dwordx4 s[8:11], s[4:5], 0x58
	;; [unrolled: 1-line block ×3, first 2 shown]
	v_mul_u32_u24_e32 v1, 0x112, v0
	v_mov_b32_e32 v6, 0
	v_add_nc_u32_sdwa v10, s6, v1 dst_sel:DWORD dst_unused:UNUSED_PAD src0_sel:DWORD src1_sel:WORD_1
	v_mov_b32_e32 v1, 0
	v_mov_b32_e32 v11, v6
	v_mov_b32_e32 v2, 0
	s_waitcnt lgkmcnt(0)
	v_cmp_lt_u64_e64 s0, s[14:15], 2
	s_and_b32 vcc_lo, exec_lo, s0
	s_cbranch_vccnz .LBB0_8
; %bb.1:
	s_load_dwordx2 s[0:1], s[4:5], 0x10
	v_mov_b32_e32 v1, 0
	v_mov_b32_e32 v2, 0
	s_add_u32 s2, s18, 8
	s_addc_u32 s3, s19, 0
	s_add_u32 s6, s16, 8
	s_addc_u32 s7, s17, 0
	v_mov_b32_e32 v5, v2
	v_mov_b32_e32 v4, v1
	s_mov_b64 s[22:23], 1
	s_waitcnt lgkmcnt(0)
	s_add_u32 s20, s0, 8
	s_addc_u32 s21, s1, 0
.LBB0_2:                                ; =>This Inner Loop Header: Depth=1
	s_load_dwordx2 s[24:25], s[20:21], 0x0
                                        ; implicit-def: $vgpr8_vgpr9
	s_mov_b32 s0, exec_lo
	s_waitcnt lgkmcnt(0)
	v_or_b32_e32 v7, s25, v11
	v_cmpx_ne_u64_e32 0, v[6:7]
	s_xor_b32 s1, exec_lo, s0
	s_cbranch_execz .LBB0_4
; %bb.3:                                ;   in Loop: Header=BB0_2 Depth=1
	v_cvt_f32_u32_e32 v3, s24
	v_cvt_f32_u32_e32 v7, s25
	s_sub_u32 s0, 0, s24
	s_subb_u32 s26, 0, s25
	v_fmac_f32_e32 v3, 0x4f800000, v7
	v_rcp_f32_e32 v3, v3
	v_mul_f32_e32 v3, 0x5f7ffffc, v3
	v_mul_f32_e32 v7, 0x2f800000, v3
	v_trunc_f32_e32 v7, v7
	v_fmac_f32_e32 v3, 0xcf800000, v7
	v_cvt_u32_f32_e32 v7, v7
	v_cvt_u32_f32_e32 v3, v3
	v_mul_lo_u32 v8, s0, v7
	v_mul_hi_u32 v9, s0, v3
	v_mul_lo_u32 v12, s26, v3
	v_add_nc_u32_e32 v8, v9, v8
	v_mul_lo_u32 v9, s0, v3
	v_add_nc_u32_e32 v8, v8, v12
	v_mul_hi_u32 v12, v3, v9
	v_mul_lo_u32 v13, v3, v8
	v_mul_hi_u32 v14, v3, v8
	v_mul_hi_u32 v15, v7, v9
	v_mul_lo_u32 v9, v7, v9
	v_mul_hi_u32 v16, v7, v8
	v_mul_lo_u32 v8, v7, v8
	v_add_co_u32 v12, vcc_lo, v12, v13
	v_add_co_ci_u32_e32 v13, vcc_lo, 0, v14, vcc_lo
	v_add_co_u32 v9, vcc_lo, v12, v9
	v_add_co_ci_u32_e32 v9, vcc_lo, v13, v15, vcc_lo
	v_add_co_ci_u32_e32 v12, vcc_lo, 0, v16, vcc_lo
	v_add_co_u32 v8, vcc_lo, v9, v8
	v_add_co_ci_u32_e32 v9, vcc_lo, 0, v12, vcc_lo
	v_add_co_u32 v3, vcc_lo, v3, v8
	v_add_co_ci_u32_e32 v7, vcc_lo, v7, v9, vcc_lo
	v_mul_hi_u32 v8, s0, v3
	v_mul_lo_u32 v12, s26, v3
	v_mul_lo_u32 v9, s0, v7
	v_add_nc_u32_e32 v8, v8, v9
	v_mul_lo_u32 v9, s0, v3
	v_add_nc_u32_e32 v8, v8, v12
	v_mul_hi_u32 v12, v3, v9
	v_mul_lo_u32 v13, v3, v8
	v_mul_hi_u32 v14, v3, v8
	v_mul_hi_u32 v15, v7, v9
	v_mul_lo_u32 v9, v7, v9
	v_mul_hi_u32 v16, v7, v8
	v_mul_lo_u32 v8, v7, v8
	v_add_co_u32 v12, vcc_lo, v12, v13
	v_add_co_ci_u32_e32 v13, vcc_lo, 0, v14, vcc_lo
	v_add_co_u32 v9, vcc_lo, v12, v9
	v_add_co_ci_u32_e32 v9, vcc_lo, v13, v15, vcc_lo
	v_add_co_ci_u32_e32 v12, vcc_lo, 0, v16, vcc_lo
	v_add_co_u32 v8, vcc_lo, v9, v8
	v_add_co_ci_u32_e32 v9, vcc_lo, 0, v12, vcc_lo
	v_add_co_u32 v3, vcc_lo, v3, v8
	v_add_co_ci_u32_e32 v9, vcc_lo, v7, v9, vcc_lo
	v_mul_hi_u32 v16, v10, v3
	v_mad_u64_u32 v[12:13], null, v11, v3, 0
	v_mad_u64_u32 v[7:8], null, v10, v9, 0
	;; [unrolled: 1-line block ×3, first 2 shown]
	v_add_co_u32 v3, vcc_lo, v16, v7
	v_add_co_ci_u32_e32 v7, vcc_lo, 0, v8, vcc_lo
	v_add_co_u32 v3, vcc_lo, v3, v12
	v_add_co_ci_u32_e32 v3, vcc_lo, v7, v13, vcc_lo
	v_add_co_ci_u32_e32 v7, vcc_lo, 0, v15, vcc_lo
	v_add_co_u32 v3, vcc_lo, v3, v14
	v_add_co_ci_u32_e32 v9, vcc_lo, 0, v7, vcc_lo
	v_mul_lo_u32 v12, s25, v3
	v_mad_u64_u32 v[7:8], null, s24, v3, 0
	v_mul_lo_u32 v13, s24, v9
	v_sub_co_u32 v7, vcc_lo, v10, v7
	v_add3_u32 v8, v8, v13, v12
	v_sub_nc_u32_e32 v12, v11, v8
	v_subrev_co_ci_u32_e64 v12, s0, s25, v12, vcc_lo
	v_add_co_u32 v13, s0, v3, 2
	v_add_co_ci_u32_e64 v14, s0, 0, v9, s0
	v_sub_co_u32 v15, s0, v7, s24
	v_sub_co_ci_u32_e32 v8, vcc_lo, v11, v8, vcc_lo
	v_subrev_co_ci_u32_e64 v12, s0, 0, v12, s0
	v_cmp_le_u32_e32 vcc_lo, s24, v15
	v_cmp_eq_u32_e64 s0, s25, v8
	v_cndmask_b32_e64 v15, 0, -1, vcc_lo
	v_cmp_le_u32_e32 vcc_lo, s25, v12
	v_cndmask_b32_e64 v16, 0, -1, vcc_lo
	v_cmp_le_u32_e32 vcc_lo, s24, v7
	;; [unrolled: 2-line block ×3, first 2 shown]
	v_cndmask_b32_e64 v17, 0, -1, vcc_lo
	v_cmp_eq_u32_e32 vcc_lo, s25, v12
	v_cndmask_b32_e64 v7, v17, v7, s0
	v_cndmask_b32_e32 v12, v16, v15, vcc_lo
	v_add_co_u32 v15, vcc_lo, v3, 1
	v_add_co_ci_u32_e32 v16, vcc_lo, 0, v9, vcc_lo
	v_cmp_ne_u32_e32 vcc_lo, 0, v12
	v_cndmask_b32_e32 v8, v16, v14, vcc_lo
	v_cndmask_b32_e32 v12, v15, v13, vcc_lo
	v_cmp_ne_u32_e32 vcc_lo, 0, v7
	v_cndmask_b32_e32 v9, v9, v8, vcc_lo
	v_cndmask_b32_e32 v8, v3, v12, vcc_lo
.LBB0_4:                                ;   in Loop: Header=BB0_2 Depth=1
	s_andn2_saveexec_b32 s0, s1
	s_cbranch_execz .LBB0_6
; %bb.5:                                ;   in Loop: Header=BB0_2 Depth=1
	v_cvt_f32_u32_e32 v3, s24
	s_sub_i32 s1, 0, s24
	v_rcp_iflag_f32_e32 v3, v3
	v_mul_f32_e32 v3, 0x4f7ffffe, v3
	v_cvt_u32_f32_e32 v3, v3
	v_mul_lo_u32 v7, s1, v3
	v_mul_hi_u32 v7, v3, v7
	v_add_nc_u32_e32 v3, v3, v7
	v_mul_hi_u32 v3, v10, v3
	v_mul_lo_u32 v7, v3, s24
	v_add_nc_u32_e32 v8, 1, v3
	v_sub_nc_u32_e32 v7, v10, v7
	v_subrev_nc_u32_e32 v9, s24, v7
	v_cmp_le_u32_e32 vcc_lo, s24, v7
	v_cndmask_b32_e32 v7, v7, v9, vcc_lo
	v_cndmask_b32_e32 v3, v3, v8, vcc_lo
	v_mov_b32_e32 v9, v6
	v_cmp_le_u32_e32 vcc_lo, s24, v7
	v_add_nc_u32_e32 v8, 1, v3
	v_cndmask_b32_e32 v8, v3, v8, vcc_lo
.LBB0_6:                                ;   in Loop: Header=BB0_2 Depth=1
	s_or_b32 exec_lo, exec_lo, s0
	v_mul_lo_u32 v3, v9, s24
	v_mul_lo_u32 v7, v8, s25
	s_load_dwordx2 s[0:1], s[6:7], 0x0
	v_mad_u64_u32 v[12:13], null, v8, s24, 0
	s_load_dwordx2 s[24:25], s[2:3], 0x0
	s_add_u32 s22, s22, 1
	s_addc_u32 s23, s23, 0
	s_add_u32 s2, s2, 8
	s_addc_u32 s3, s3, 0
	s_add_u32 s6, s6, 8
	v_add3_u32 v3, v13, v7, v3
	v_sub_co_u32 v7, vcc_lo, v10, v12
	s_addc_u32 s7, s7, 0
	s_add_u32 s20, s20, 8
	v_sub_co_ci_u32_e32 v3, vcc_lo, v11, v3, vcc_lo
	s_addc_u32 s21, s21, 0
	s_waitcnt lgkmcnt(0)
	v_mul_lo_u32 v10, s0, v3
	v_mul_lo_u32 v11, s1, v7
	v_mad_u64_u32 v[1:2], null, s0, v7, v[1:2]
	v_mul_lo_u32 v3, s24, v3
	v_mul_lo_u32 v12, s25, v7
	v_mad_u64_u32 v[4:5], null, s24, v7, v[4:5]
	v_cmp_ge_u64_e64 s0, s[22:23], s[14:15]
	v_add3_u32 v2, v11, v2, v10
	v_add3_u32 v5, v12, v5, v3
	s_and_b32 vcc_lo, exec_lo, s0
	s_cbranch_vccnz .LBB0_9
; %bb.7:                                ;   in Loop: Header=BB0_2 Depth=1
	v_mov_b32_e32 v11, v9
	v_mov_b32_e32 v10, v8
	s_branch .LBB0_2
.LBB0_8:
	v_mov_b32_e32 v5, v2
	v_mov_b32_e32 v8, v10
	;; [unrolled: 1-line block ×4, first 2 shown]
.LBB0_9:
	s_load_dwordx2 s[0:1], s[4:5], 0x28
	v_mul_hi_u32 v3, 0x1111112, v0
	s_lshl_b64 s[4:5], s[14:15], 3
                                        ; implicit-def: $vgpr6
                                        ; implicit-def: $vgpr10
                                        ; implicit-def: $vgpr12
	s_add_u32 s2, s18, s4
	s_addc_u32 s3, s19, s5
	s_waitcnt lgkmcnt(0)
	v_cmp_gt_u64_e32 vcc_lo, s[0:1], v[8:9]
	v_cmp_le_u64_e64 s0, s[0:1], v[8:9]
	s_and_saveexec_b32 s1, s0
	s_xor_b32 s0, exec_lo, s1
; %bb.10:
	v_mul_u32_u24_e32 v1, 0xf0, v3
                                        ; implicit-def: $vgpr3
	v_sub_nc_u32_e32 v6, v0, v1
                                        ; implicit-def: $vgpr0
                                        ; implicit-def: $vgpr1_vgpr2
	v_add_nc_u32_e32 v10, 0xf0, v6
	v_add_nc_u32_e32 v12, 0x1e0, v6
; %bb.11:
	s_andn2_saveexec_b32 s1, s0
	s_cbranch_execz .LBB0_13
; %bb.12:
	s_add_u32 s4, s16, s4
	s_addc_u32 s5, s17, s5
	v_mul_u32_u24_e32 v3, 0xf0, v3
	s_load_dwordx2 s[4:5], s[4:5], 0x0
	v_lshlrev_b64 v[1:2], 2, v[1:2]
	s_waitcnt lgkmcnt(0)
	v_mul_lo_u32 v10, s5, v8
	v_mul_lo_u32 v11, s4, v9
	v_mad_u64_u32 v[6:7], null, s4, v8, 0
	v_add3_u32 v7, v7, v11, v10
	v_lshlrev_b64 v[10:11], 2, v[6:7]
	v_sub_nc_u32_e32 v6, v0, v3
	v_lshlrev_b32_e32 v7, 2, v6
	v_add_co_u32 v0, s0, s8, v10
	v_add_co_ci_u32_e64 v3, s0, s9, v11, s0
	v_add_co_u32 v0, s0, v0, v1
	v_add_co_ci_u32_e64 v1, s0, v3, v2, s0
	v_add_co_u32 v0, s0, v0, v7
	v_add_co_ci_u32_e64 v1, s0, 0, v1, s0
	v_add_nc_u32_e32 v7, 0, v7
	v_add_co_u32 v2, s0, 0x800, v0
	v_add_co_ci_u32_e64 v3, s0, 0, v1, s0
	v_add_co_u32 v10, s0, 0x1000, v0
	v_add_co_ci_u32_e64 v11, s0, 0, v1, s0
	;; [unrolled: 2-line block ×4, first 2 shown]
	s_clause 0x9
	global_load_dword v16, v[0:1], off
	global_load_dword v17, v[0:1], off offset:960
	global_load_dword v0, v[0:1], off offset:1920
	;; [unrolled: 1-line block ×9, first 2 shown]
	v_add_nc_u32_e32 v10, 0xf0, v6
	v_add_nc_u32_e32 v12, 0x1e0, v6
	;; [unrolled: 1-line block ×6, first 2 shown]
	s_waitcnt vmcnt(8)
	ds_write2_b32 v7, v16, v17 offset1:240
	s_waitcnt vmcnt(6)
	ds_write2_b32 v15, v0, v1 offset1:240
	;; [unrolled: 2-line block ×5, first 2 shown]
.LBB0_13:
	s_or_b32 exec_lo, exec_lo, s1
	v_lshl_add_u32 v14, v6, 2, 0
	s_load_dwordx2 s[2:3], s[2:3], 0x0
	s_waitcnt lgkmcnt(0)
	s_barrier
	buffer_gl0_inv
	v_add_nc_u32_e32 v0, 0x600, v14
	v_add_nc_u32_e32 v1, 0xd00, v14
	v_add_nc_u32_e32 v2, 0x1a00, v14
	v_add_nc_u32_e32 v3, 0x1fc0, v14
	v_add_nc_u32_e32 v7, 0x12c0, v14
	ds_read2_b32 v[17:18], v0 offset0:96 offset1:216
	ds_read2_b32 v[19:20], v1 offset0:8 offset1:248
	;; [unrolled: 1-line block ×4, first 2 shown]
	ds_read2_b32 v[21:22], v14 offset1:240
	ds_read2_b32 v[23:24], v7 offset1:240
	v_lshl_add_u32 v16, v10, 4, 0
	v_mad_u32_u24 v13, v6, 12, v14
	s_waitcnt lgkmcnt(0)
	s_barrier
	buffer_gl0_inv
	v_pk_add_f16 v0, v17, v0 neg_lo:[0,1] neg_hi:[0,1]
	v_pk_add_f16 v11, v20, v3 neg_lo:[0,1] neg_hi:[0,1]
	;; [unrolled: 1-line block ×6, first 2 shown]
	v_pk_fma_f16 v1, v17, 2.0, v0 op_sel_hi:[1,0,1] neg_lo:[0,0,1] neg_hi:[0,0,1]
	v_pk_fma_f16 v3, v20, 2.0, v11 op_sel_hi:[1,0,1] neg_lo:[0,0,1] neg_hi:[0,0,1]
	v_pk_add_f16 v7, v0, v11 op_sel:[0,1] op_sel_hi:[1,0] neg_lo:[0,1] neg_hi:[0,1]
	v_pk_add_f16 v2, v0, v11 op_sel:[0,1] op_sel_hi:[1,0]
	v_pk_fma_f16 v11, v22, 2.0, v15 op_sel_hi:[1,0,1] neg_lo:[0,0,1] neg_hi:[0,0,1]
	v_pk_fma_f16 v17, v19, 2.0, v24 op_sel_hi:[1,0,1] neg_lo:[0,0,1] neg_hi:[0,0,1]
	v_alignbit_b32 v19, s0, v24, 16
	v_alignbit_b32 v22, s0, v15, 16
	;; [unrolled: 1-line block ×4, first 2 shown]
	v_lshrrev_b32_e32 v20, 16, v15
	v_pk_fma_f16 v21, v21, 2.0, v23 op_sel_hi:[1,0,1] neg_lo:[0,0,1] neg_hi:[0,0,1]
	v_pk_fma_f16 v18, v18, 2.0, v25 op_sel_hi:[1,0,1] neg_lo:[0,0,1] neg_hi:[0,0,1]
	v_lshrrev_b32_e32 v27, 16, v23
	v_pk_add_f16 v17, v11, v17 neg_lo:[0,1] neg_hi:[0,1]
	v_pk_add_f16 v19, v15, v19 neg_lo:[0,1] neg_hi:[0,1]
	v_pk_add_f16 v22, v22, v24
	v_pk_add_f16 v24, v23, v26 neg_lo:[0,1] neg_hi:[0,1]
	v_pk_add_f16 v25, v28, v25
	v_pk_add_f16 v18, v21, v18 neg_lo:[0,1] neg_hi:[0,1]
	v_pk_fma_f16 v26, v11, 2.0, v17 op_sel_hi:[1,0,1] neg_lo:[0,0,1] neg_hi:[0,0,1]
	v_fma_f16 v11, v15, 2.0, -v19
	v_fma_f16 v15, v20, 2.0, -v22
	;; [unrolled: 1-line block ×4, first 2 shown]
	v_pk_fma_f16 v21, v21, 2.0, v18 op_sel_hi:[1,0,1] neg_lo:[0,0,1] neg_hi:[0,0,1]
	v_cmp_lt_u32_e64 s0, 0x77, v6
	v_pack_b32_f16 v15, v11, v15
	v_lshrrev_b32_e32 v11, 16, v2
	v_pack_b32_f16 v20, v20, v23
	v_pack_b32_f16 v23, v24, v25
	;; [unrolled: 1-line block ×3, first 2 shown]
	ds_write2_b32 v13, v21, v20 offset1:1
	ds_write2_b32 v13, v18, v23 offset0:2 offset1:3
	ds_write2_b32 v16, v26, v15 offset1:1
	ds_write2_b32 v16, v17, v19 offset0:2 offset1:3
	s_and_saveexec_b32 s1, s0
	s_xor_b32 s0, exec_lo, s1
; %bb.14:
                                        ; implicit-def: $vgpr2
                                        ; implicit-def: $vgpr0
; %bb.15:
	s_or_saveexec_b32 s0, s0
	v_pk_add_f16 v13, v1, v3 neg_lo:[0,1] neg_hi:[0,1]
	s_xor_b32 exec_lo, exec_lo, s0
	s_cbranch_execz .LBB0_17
; %bb.16:
	v_bfi_b32 v2, 0xffff, v7, v2
	v_lshl_add_u32 v3, v12, 4, 0
	v_pk_fma_f16 v1, v1, 2.0, v13 op_sel_hi:[1,0,1] neg_lo:[0,0,1] neg_hi:[0,0,1]
	v_pk_fma_f16 v0, v0, 2.0, v2 op_sel_hi:[1,0,1] neg_lo:[0,0,1] neg_hi:[0,0,1]
	ds_write2_b32 v3, v1, v0 offset1:1
	ds_write2_b32 v3, v13, v2 offset0:2 offset1:3
.LBB0_17:
	s_or_b32 exec_lo, exec_lo, s0
	v_and_b32_e32 v32, 3, v6
	s_waitcnt lgkmcnt(0)
	s_barrier
	buffer_gl0_inv
	v_mad_i32_i24 v17, v10, -12, v16
	v_mul_u32_u24_e32 v0, 9, v32
	v_add_nc_u32_e32 v19, 0x12c0, v14
	v_add_nc_u32_e32 v20, 0x1a40, v14
	v_add_nc_u32_e32 v18, 0xb40, v14
	v_and_b32_e32 v21, 0xff, v6
	v_lshlrev_b32_e32 v15, 2, v0
	v_lshrrev_b32_e32 v36, 2, v6
	v_mov_b32_e32 v39, 9
	v_cmp_gt_u32_e64 s0, 0xa0, v6
	v_mul_lo_u16 v21, 0xcd, v21
	s_clause 0x2
	global_load_dwordx4 v[0:3], v15, s[12:13]
	global_load_dwordx4 v[22:25], v15, s[12:13] offset:16
	global_load_dword v33, v15, s[12:13] offset:32
	v_lshl_add_u32 v15, v12, 2, 0
	ds_read_b32 v34, v14
	ds_read_b32 v35, v14 offset:8640
	ds_read2_b32 v[26:27], v19 offset1:240
	ds_read2_b32 v[28:29], v20 offset1:240
	ds_read_b32 v37, v17
	ds_read_b32 v38, v15
	ds_read2_b32 v[30:31], v18 offset1:240
	v_mul_u32_u24_e32 v36, 40, v36
	v_lshrrev_b16 v21, 13, v21
	s_waitcnt vmcnt(0) lgkmcnt(0)
	s_barrier
	buffer_gl0_inv
	v_or_b32_e32 v32, v36, v32
	v_mul_lo_u16 v36, v21, 40
	v_lshl_add_u32 v32, v32, 2, 0
	v_sub_nc_u16 v36, v6, v36
	v_lshrrev_b32_e32 v40, 16, v34
	v_lshrrev_b32_e32 v42, 16, v27
	;; [unrolled: 1-line block ×10, first 2 shown]
	v_mul_u32_u24_sdwa v39, v36, v39 dst_sel:DWORD dst_unused:UNUSED_PAD src0_sel:BYTE_0 src1_sel:DWORD
	v_lshlrev_b32_e32 v39, 2, v39
	v_mul_f16_sdwa v54, v2, v47 dst_sel:DWORD dst_unused:UNUSED_PAD src0_sel:WORD_1 src1_sel:DWORD
	v_mul_f16_sdwa v50, v0, v45 dst_sel:DWORD dst_unused:UNUSED_PAD src0_sel:WORD_1 src1_sel:DWORD
	;; [unrolled: 1-line block ×9, first 2 shown]
	v_mul_f16_sdwa v60, v42, v23 dst_sel:DWORD dst_unused:UNUSED_PAD src0_sel:DWORD src1_sel:WORD_1
	v_fma_f16 v30, v2, v30, -v54
	v_mul_f16_sdwa v54, v44, v25 dst_sel:DWORD dst_unused:UNUSED_PAD src0_sel:DWORD src1_sel:WORD_1
	v_mul_f16_sdwa v57, v3, v31 dst_sel:DWORD dst_unused:UNUSED_PAD src0_sel:WORD_1 src1_sel:DWORD
	v_mul_f16_sdwa v61, v27, v23 dst_sel:DWORD dst_unused:UNUSED_PAD src0_sel:DWORD src1_sel:WORD_1
	v_mul_f16_sdwa v62, v43, v24 dst_sel:DWORD dst_unused:UNUSED_PAD src0_sel:DWORD src1_sel:WORD_1
	;; [unrolled: 1-line block ×3, first 2 shown]
	v_fma_f16 v31, v3, v31, -v55
	v_mul_f16_sdwa v55, v29, v25 dst_sel:DWORD dst_unused:UNUSED_PAD src0_sel:DWORD src1_sel:WORD_1
	v_fma_f16 v37, v0, v37, -v50
	v_fmac_f16_e32 v51, v0, v45
	v_mul_f16_sdwa v0, v35, v33 dst_sel:DWORD dst_unused:UNUSED_PAD src0_sel:DWORD src1_sel:WORD_1
	v_fma_f16 v38, v1, v38, -v52
	v_fmac_f16_e32 v53, v1, v46
	v_fmac_f16_e32 v56, v2, v47
	v_fma_f16 v1, v22, v26, -v58
	v_fmac_f16_e32 v59, v22, v49
	v_fma_f16 v2, v27, v23, -v60
	v_fma_f16 v22, v29, v25, -v54
	v_mul_f16_sdwa v50, v41, v33 dst_sel:DWORD dst_unused:UNUSED_PAD src0_sel:DWORD src1_sel:WORD_1
	v_fmac_f16_e32 v57, v3, v48
	v_fmac_f16_e32 v61, v42, v23
	v_fma_f16 v3, v28, v24, -v62
	v_fmac_f16_e32 v63, v43, v24
	v_fmac_f16_e32 v55, v44, v25
	;; [unrolled: 1-line block ×3, first 2 shown]
	v_add_f16_e32 v25, v31, v2
	v_sub_f16_e32 v26, v38, v31
	v_sub_f16_e32 v27, v22, v2
	v_add_f16_e32 v28, v38, v22
	v_fma_f16 v23, v35, v33, -v50
	v_sub_f16_e32 v29, v31, v38
	v_sub_f16_e32 v33, v2, v22
	v_add_f16_e32 v24, v34, v38
	v_sub_f16_e32 v42, v53, v57
	v_sub_f16_e32 v43, v55, v61
	v_add_f16_e32 v48, v1, v3
	v_add_f16_e32 v62, v59, v63
	v_add_f16_e32 v26, v26, v27
	v_sub_f16_e32 v27, v56, v59
	v_fma_f16 v25, -0.5, v25, v34
	v_fmac_f16_e32 v34, -0.5, v28
	v_sub_f16_e32 v28, v0, v63
	v_add_f16_e32 v52, v30, v23
	v_sub_f16_e32 v54, v1, v30
	v_sub_f16_e32 v58, v3, v23
	v_add_f16_e32 v29, v29, v33
	v_add_f16_e32 v33, v56, v0
	;; [unrolled: 1-line block ×4, first 2 shown]
	v_sub_f16_e32 v49, v30, v1
	v_add_f16_e32 v60, v51, v56
	v_add_f16_e32 v42, v42, v43
	v_sub_f16_e32 v43, v59, v56
	v_sub_f16_e32 v56, v56, v0
	v_fma_f16 v48, -0.5, v48, v37
	v_sub_f16_e32 v30, v30, v23
	v_add_f16_e32 v27, v27, v28
	v_fma_f16 v28, -0.5, v62, v51
	v_add_f16_e32 v41, v57, v61
	v_add_f16_e32 v44, v53, v55
	v_sub_f16_e32 v45, v57, v53
	v_sub_f16_e32 v46, v61, v55
	v_fmac_f16_e32 v37, -0.5, v52
	v_sub_f16_e32 v52, v59, v63
	v_add_f16_e32 v54, v54, v58
	v_sub_f16_e32 v58, v1, v3
	v_fmac_f16_e32 v51, -0.5, v33
	v_sub_f16_e32 v50, v23, v3
	v_add_f16_e32 v24, v24, v31
	v_add_f16_e32 v33, v35, v57
	;; [unrolled: 1-line block ×4, first 2 shown]
	v_fmamk_f16 v47, v56, 0x3b9c, v48
	v_fmamk_f16 v59, v30, 0xbb9c, v28
	v_fma_f16 v41, -0.5, v41, v40
	v_fmac_f16_e32 v40, -0.5, v44
	v_sub_f16_e32 v44, v63, v0
	v_sub_f16_e32 v53, v53, v55
	v_add_f16_e32 v45, v45, v46
	v_sub_f16_e32 v46, v57, v61
	v_fmamk_f16 v57, v52, 0xbb9c, v37
	v_fmac_f16_e32 v37, 0x3b9c, v52
	v_fmamk_f16 v60, v58, 0x3b9c, v51
	v_fmac_f16_e32 v51, 0xbb9c, v58
	v_fmac_f16_e32 v48, 0xbb9c, v56
	;; [unrolled: 1-line block ×3, first 2 shown]
	v_sub_f16_e32 v38, v38, v22
	v_add_f16_e32 v49, v49, v50
	v_sub_f16_e32 v50, v31, v2
	v_add_f16_e32 v2, v24, v2
	v_add_f16_e32 v1, v1, v3
	v_fmac_f16_e32 v47, 0x38b4, v52
	v_fmac_f16_e32 v59, 0xb8b4, v58
	v_add_f16_e32 v31, v43, v44
	v_fmamk_f16 v24, v53, 0x3b9c, v25
	v_fmac_f16_e32 v25, 0xbb9c, v53
	v_add_f16_e32 v33, v33, v61
	v_add_f16_e32 v35, v35, v63
	v_fmac_f16_e32 v57, 0x38b4, v56
	v_fmac_f16_e32 v37, 0xb8b4, v56
	;; [unrolled: 1-line block ×4, first 2 shown]
	v_fmamk_f16 v43, v46, 0xbb9c, v34
	v_fmac_f16_e32 v34, 0x3b9c, v46
	v_fmac_f16_e32 v48, 0xb8b4, v52
	;; [unrolled: 1-line block ×3, first 2 shown]
	v_fmamk_f16 v3, v38, 0xbb9c, v41
	v_add_f16_e32 v2, v2, v22
	v_add_f16_e32 v1, v1, v23
	v_fmac_f16_e32 v47, 0x34f2, v49
	v_fmac_f16_e32 v59, 0x34f2, v27
	v_fmamk_f16 v44, v50, 0x3b9c, v40
	v_fmac_f16_e32 v40, 0xbb9c, v50
	v_fmac_f16_e32 v24, 0x38b4, v46
	;; [unrolled: 1-line block ×3, first 2 shown]
	v_add_f16_e32 v22, v33, v55
	v_add_f16_e32 v0, v35, v0
	v_fmac_f16_e32 v57, 0x34f2, v54
	v_fmac_f16_e32 v37, 0x34f2, v54
	;; [unrolled: 1-line block ×10, first 2 shown]
	v_add_f16_e32 v23, v2, v1
	v_sub_f16_e32 v1, v2, v1
	v_mul_f16_e32 v2, 0x38b4, v59
	v_mul_f16_e32 v30, 0xb8b4, v47
	v_fmac_f16_e32 v44, 0xb8b4, v38
	v_fmac_f16_e32 v40, 0x38b4, v38
	;; [unrolled: 1-line block ×4, first 2 shown]
	v_add_f16_e32 v26, v22, v0
	v_sub_f16_e32 v0, v22, v0
	v_mul_f16_e32 v22, 0x3b9c, v60
	v_mul_f16_e32 v27, 0x34f2, v37
	;; [unrolled: 1-line block ×4, first 2 shown]
	v_fmac_f16_e32 v41, 0x38b4, v50
	v_fmac_f16_e32 v43, 0x34f2, v29
	v_fmac_f16_e32 v34, 0x34f2, v29
	v_mul_f16_e32 v29, 0x3a79, v48
	v_mul_f16_e32 v35, 0x3a79, v28
	v_fmac_f16_e32 v3, 0x34f2, v42
	v_fmac_f16_e32 v2, 0x3a79, v47
	;; [unrolled: 1-line block ×5, first 2 shown]
	v_pack_b32_f16 v0, v1, v0
	v_fmac_f16_e32 v22, 0x34f2, v57
	v_fma_f16 v1, v51, 0x3b9c, -v27
	v_fmac_f16_e32 v31, 0x34f2, v60
	v_fma_f16 v27, v37, 0xbb9c, -v33
	v_fmac_f16_e32 v41, 0x34f2, v42
	v_pack_b32_f16 v23, v23, v26
	v_fma_f16 v26, v28, 0x38b4, -v29
	v_fma_f16 v28, v48, 0xb8b4, -v35
	v_add_f16_e32 v29, v24, v2
	v_add_f16_e32 v38, v3, v30
	v_add_f16_e32 v33, v43, v22
	v_add_f16_e32 v35, v34, v1
	v_add_f16_e32 v42, v44, v31
	v_add_f16_e32 v45, v40, v27
	v_add_f16_e32 v37, v25, v26
	v_add_f16_e32 v46, v41, v28
	v_sub_f16_e32 v2, v24, v2
	v_sub_f16_e32 v22, v43, v22
	;; [unrolled: 1-line block ×8, first 2 shown]
	v_pack_b32_f16 v28, v29, v38
	v_pack_b32_f16 v29, v33, v42
	;; [unrolled: 1-line block ×8, first 2 shown]
	ds_write2_b32 v32, v23, v28 offset1:4
	ds_write2_b32 v32, v29, v30 offset0:8 offset1:12
	ds_write2_b32 v32, v31, v0 offset0:16 offset1:20
	;; [unrolled: 1-line block ×4, first 2 shown]
	s_waitcnt lgkmcnt(0)
	s_barrier
	buffer_gl0_inv
	s_clause 0x2
	global_load_dwordx4 v[0:3], v39, s[12:13] offset:144
	global_load_dwordx4 v[22:25], v39, s[12:13] offset:160
	global_load_dword v28, v39, s[12:13] offset:176
	v_mov_b32_e32 v26, 0x640
	v_mov_b32_e32 v29, 2
	v_mul_u32_u24_sdwa v21, v21, v26 dst_sel:DWORD dst_unused:UNUSED_PAD src0_sel:WORD_0 src1_sel:DWORD
	ds_read_b32 v30, v14
	ds_read2_b32 v[26:27], v19 offset1:240
	ds_read2_b32 v[19:20], v20 offset1:240
	ds_read_b32 v31, v14 offset:8640
	ds_read_b32 v32, v17
	ds_read_b32 v33, v15
	ds_read2_b32 v[17:18], v18 offset1:240
	v_lshlrev_b32_sdwa v29, v29, v36 dst_sel:DWORD dst_unused:UNUSED_PAD src0_sel:DWORD src1_sel:BYTE_0
	s_waitcnt vmcnt(0) lgkmcnt(0)
	s_barrier
	buffer_gl0_inv
	v_add3_u32 v29, 0, v21, v29
	v_add_nc_u32_e32 v34, 0x200, v29
	v_add_nc_u32_e32 v35, 0x400, v29
	v_lshrrev_b32_e32 v39, 16, v31
	v_lshrrev_b32_e32 v36, 16, v27
	;; [unrolled: 1-line block ×10, first 2 shown]
	v_mul_f16_sdwa v45, v0, v40 dst_sel:DWORD dst_unused:UNUSED_PAD src0_sel:WORD_1 src1_sel:DWORD
	v_mul_f16_sdwa v46, v0, v32 dst_sel:DWORD dst_unused:UNUSED_PAD src0_sel:WORD_1 src1_sel:DWORD
	;; [unrolled: 1-line block ×7, first 2 shown]
	v_mul_f16_sdwa v55, v36, v23 dst_sel:DWORD dst_unused:UNUSED_PAD src0_sel:DWORD src1_sel:WORD_1
	v_mul_f16_sdwa v57, v37, v24 dst_sel:DWORD dst_unused:UNUSED_PAD src0_sel:DWORD src1_sel:WORD_1
	;; [unrolled: 1-line block ×3, first 2 shown]
	v_mul_f16_sdwa v48, v1, v33 dst_sel:DWORD dst_unused:UNUSED_PAD src0_sel:WORD_1 src1_sel:DWORD
	v_mul_f16_sdwa v53, v22, v44 dst_sel:DWORD dst_unused:UNUSED_PAD src0_sel:WORD_1 src1_sel:DWORD
	;; [unrolled: 1-line block ×3, first 2 shown]
	v_mul_f16_sdwa v56, v27, v23 dst_sel:DWORD dst_unused:UNUSED_PAD src0_sel:DWORD src1_sel:WORD_1
	v_mul_f16_sdwa v58, v19, v24 dst_sel:DWORD dst_unused:UNUSED_PAD src0_sel:DWORD src1_sel:WORD_1
	;; [unrolled: 1-line block ×5, first 2 shown]
	v_fma_f16 v17, v2, v17, -v49
	v_fma_f16 v18, v3, v18, -v51
	;; [unrolled: 1-line block ×3, first 2 shown]
	v_fmac_f16_e32 v46, v0, v40
	v_fma_f16 v0, v1, v33, -v47
	v_fmac_f16_e32 v50, v2, v42
	v_fmac_f16_e32 v52, v3, v43
	v_fma_f16 v2, v27, v23, -v55
	v_fma_f16 v3, v19, v24, -v57
	;; [unrolled: 1-line block ×3, first 2 shown]
	v_fmac_f16_e32 v48, v1, v41
	v_fma_f16 v1, v22, v26, -v53
	v_fmac_f16_e32 v54, v22, v44
	v_fmac_f16_e32 v56, v36, v23
	;; [unrolled: 1-line block ×4, first 2 shown]
	v_fma_f16 v20, v31, v28, -v61
	v_fmac_f16_e32 v62, v39, v28
	v_add_f16_e32 v23, v18, v2
	v_add_f16_e32 v28, v0, v19
	v_sub_f16_e32 v39, v48, v52
	v_sub_f16_e32 v40, v60, v56
	;; [unrolled: 1-line block ×4, first 2 shown]
	v_add_f16_e32 v44, v32, v17
	v_add_f16_e32 v45, v1, v3
	;; [unrolled: 1-line block ×4, first 2 shown]
	v_sub_f16_e32 v26, v0, v18
	v_sub_f16_e32 v27, v19, v2
	;; [unrolled: 1-line block ×4, first 2 shown]
	v_add_f16_e32 v53, v17, v20
	v_fma_f16 v23, -0.5, v23, v30
	v_fmac_f16_e32 v30, -0.5, v28
	v_add_f16_e32 v28, v50, v62
	v_add_f16_e32 v37, v52, v56
	;; [unrolled: 1-line block ×3, first 2 shown]
	v_sub_f16_e32 v47, v50, v62
	v_sub_f16_e32 v49, v17, v1
	;; [unrolled: 1-line block ×6, first 2 shown]
	v_add_f16_e32 v39, v39, v40
	v_add_f16_e32 v40, v42, v43
	;; [unrolled: 1-line block ×3, first 2 shown]
	v_fma_f16 v42, -0.5, v45, v32
	v_fma_f16 v45, -0.5, v61, v46
	v_sub_f16_e32 v24, v48, v60
	v_add_f16_e32 v36, v21, v48
	v_sub_f16_e32 v38, v18, v2
	v_sub_f16_e32 v48, v54, v58
	v_add_f16_e32 v59, v46, v50
	v_add_f16_e32 v18, v22, v18
	v_sub_f16_e32 v22, v50, v54
	v_add_f16_e32 v26, v26, v27
	v_sub_f16_e32 v27, v62, v58
	v_sub_f16_e32 v50, v54, v50
	v_add_f16_e32 v31, v31, v33
	v_sub_f16_e32 v33, v58, v62
	v_fmac_f16_e32 v32, -0.5, v53
	v_fmac_f16_e32 v46, -0.5, v28
	v_sub_f16_e32 v57, v3, v20
	v_fma_f16 v37, -0.5, v37, v21
	v_fmac_f16_e32 v21, -0.5, v41
	v_add_f16_e32 v41, v49, v51
	v_add_f16_e32 v1, v1, v3
	v_fmamk_f16 v3, v47, 0x3b9c, v42
	v_fmamk_f16 v51, v17, 0xbb9c, v45
	v_sub_f16_e32 v25, v52, v56
	v_add_f16_e32 v36, v36, v52
	v_add_f16_e32 v44, v59, v54
	;; [unrolled: 1-line block ×4, first 2 shown]
	v_fmamk_f16 v50, v48, 0xbb9c, v32
	v_fmac_f16_e32 v32, 0x3b9c, v48
	v_fmamk_f16 v52, v63, 0x3b9c, v46
	v_fmac_f16_e32 v46, 0xbb9c, v63
	v_fmac_f16_e32 v42, 0xbb9c, v47
	;; [unrolled: 1-line block ×3, first 2 shown]
	v_sub_f16_e32 v0, v0, v19
	v_add_f16_e32 v2, v18, v2
	v_fmamk_f16 v49, v38, 0x3b9c, v21
	v_fmac_f16_e32 v21, 0xbb9c, v38
	v_fmac_f16_e32 v3, 0x38b4, v48
	;; [unrolled: 1-line block ×3, first 2 shown]
	v_add_f16_e32 v43, v55, v57
	v_fmamk_f16 v18, v24, 0x3b9c, v23
	v_fmac_f16_e32 v23, 0xbb9c, v24
	v_add_f16_e32 v33, v36, v56
	v_add_f16_e32 v44, v44, v58
	v_fmac_f16_e32 v50, 0x38b4, v47
	v_fmac_f16_e32 v32, 0xb8b4, v47
	;; [unrolled: 1-line block ×4, first 2 shown]
	v_fmamk_f16 v28, v25, 0xbb9c, v30
	v_fmac_f16_e32 v30, 0x3b9c, v25
	v_fmac_f16_e32 v42, 0xb8b4, v48
	;; [unrolled: 1-line block ×3, first 2 shown]
	v_fmamk_f16 v36, v0, 0xbb9c, v37
	v_fmac_f16_e32 v37, 0x3b9c, v0
	v_add_f16_e32 v2, v2, v19
	v_fmac_f16_e32 v49, 0xb8b4, v0
	v_fmac_f16_e32 v21, 0x38b4, v0
	v_add_f16_e32 v0, v1, v20
	v_fmac_f16_e32 v3, 0x34f2, v41
	v_fmac_f16_e32 v51, 0x34f2, v22
	;; [unrolled: 1-line block ×4, first 2 shown]
	v_add_f16_e32 v19, v33, v60
	v_add_f16_e32 v1, v44, v62
	v_fmac_f16_e32 v50, 0x34f2, v43
	v_fmac_f16_e32 v32, 0x34f2, v43
	;; [unrolled: 1-line block ×9, first 2 shown]
	v_add_f16_e32 v17, v2, v0
	v_sub_f16_e32 v0, v2, v0
	v_mul_f16_e32 v2, 0x38b4, v51
	v_mul_f16_e32 v25, 0xb8b4, v3
	v_fmac_f16_e32 v18, 0x34f2, v26
	v_fmac_f16_e32 v23, 0x34f2, v26
	v_add_f16_e32 v20, v19, v1
	v_sub_f16_e32 v1, v19, v1
	v_mul_f16_e32 v19, 0x3b9c, v52
	v_mul_f16_e32 v22, 0x34f2, v32
	;; [unrolled: 1-line block ×4, first 2 shown]
	v_fmac_f16_e32 v37, 0x38b4, v38
	v_fmac_f16_e32 v28, 0x34f2, v31
	v_fmac_f16_e32 v30, 0x34f2, v31
	v_mul_f16_e32 v24, 0x3a79, v42
	v_mul_f16_e32 v31, 0x3a79, v45
	v_fmac_f16_e32 v36, 0x34f2, v39
	v_fmac_f16_e32 v2, 0x3a79, v3
	v_fmac_f16_e32 v25, 0x3a79, v51
	v_fmac_f16_e32 v49, 0x34f2, v40
	v_fmac_f16_e32 v21, 0x34f2, v40
	v_fmac_f16_e32 v19, 0x34f2, v50
	v_fma_f16 v3, v46, 0x3b9c, -v22
	v_fmac_f16_e32 v26, 0x34f2, v52
	v_fma_f16 v22, v32, 0xbb9c, -v27
	v_fmac_f16_e32 v37, 0x34f2, v39
	v_pack_b32_f16 v33, v17, v20
	v_fma_f16 v20, v45, 0x38b4, -v24
	v_fma_f16 v24, v42, 0xb8b4, -v31
	v_add_f16_e32 v27, v18, v2
	v_add_f16_e32 v39, v36, v25
	;; [unrolled: 1-line block ×8, first 2 shown]
	v_pack_b32_f16 v0, v0, v1
	v_sub_f16_e32 v1, v18, v2
	v_sub_f16_e32 v17, v28, v19
	;; [unrolled: 1-line block ×8, first 2 shown]
	v_pack_b32_f16 v22, v27, v39
	v_pack_b32_f16 v23, v31, v40
	;; [unrolled: 1-line block ×8, first 2 shown]
	ds_write2_b32 v29, v33, v22 offset1:40
	ds_write2_b32 v29, v23, v24 offset0:80 offset1:120
	ds_write2_b32 v29, v25, v0 offset0:160 offset1:200
	;; [unrolled: 1-line block ×4, first 2 shown]
	s_waitcnt lgkmcnt(0)
	s_barrier
	buffer_gl0_inv
	ds_read_b32 v22, v14
	ds_read_b32 v27, v14 offset:1600
	ds_read_b32 v26, v14 offset:3200
	;; [unrolled: 1-line block ×5, first 2 shown]
	v_mul_i32_i24_e32 v0, -12, v10
	v_add_nc_u32_e32 v0, v16, v0
	s_and_saveexec_b32 s1, s0
	s_cbranch_execz .LBB0_19
; %bb.18:
	ds_read_b32 v1, v0
	ds_read_b32 v3, v14 offset:5760
	ds_read_b32 v7, v14 offset:8960
	;; [unrolled: 1-line block ×5, first 2 shown]
	s_waitcnt lgkmcnt(5)
	v_lshrrev_b32_e32 v2, 16, v1
	s_waitcnt lgkmcnt(4)
	v_lshrrev_b32_e32 v19, 16, v3
	;; [unrolled: 2-line block ×5, first 2 shown]
.LBB0_19:
	s_or_b32 exec_lo, exec_lo, s1
	v_mul_u32_u24_e32 v16, 5, v6
	s_waitcnt lgkmcnt(0)
	v_lshrrev_b32_e32 v33, 16, v23
	v_lshrrev_b32_e32 v34, 16, v24
	;; [unrolled: 1-line block ×4, first 2 shown]
	v_lshlrev_b32_e32 v16, 2, v16
	v_lshrrev_b32_e32 v36, 16, v27
	v_lshrrev_b32_e32 v32, 16, v22
	s_clause 0x1
	global_load_dwordx4 v[28:31], v16, s[12:13] offset:1584
	global_load_dword v16, v16, s[12:13] offset:1600
	s_waitcnt vmcnt(0)
	s_barrier
	buffer_gl0_inv
	v_mul_f16_sdwa v40, v29, v37 dst_sel:DWORD dst_unused:UNUSED_PAD src0_sel:WORD_1 src1_sel:DWORD
	v_mul_f16_sdwa v41, v29, v26 dst_sel:DWORD dst_unused:UNUSED_PAD src0_sel:WORD_1 src1_sel:DWORD
	;; [unrolled: 1-line block ×10, first 2 shown]
	v_fma_f16 v26, v29, v26, -v40
	v_fmac_f16_e32 v41, v29, v37
	v_fma_f16 v25, v30, v25, -v42
	v_fmac_f16_e32 v43, v30, v35
	;; [unrolled: 2-line block ×5, first 2 shown]
	v_add_f16_e32 v28, v26, v24
	v_add_f16_e32 v31, v41, v45
	;; [unrolled: 1-line block ×5, first 2 shown]
	v_sub_f16_e32 v29, v41, v45
	v_add_f16_e32 v30, v32, v41
	v_sub_f16_e32 v26, v26, v24
	v_add_f16_e32 v33, v27, v25
	;; [unrolled: 2-line block ×3, first 2 shown]
	v_sub_f16_e32 v25, v25, v23
	v_fmac_f16_e32 v22, -0.5, v28
	v_fmac_f16_e32 v32, -0.5, v31
	v_fmac_f16_e32 v27, -0.5, v34
	v_fmac_f16_e32 v39, -0.5, v37
	v_add_f16_e32 v16, v16, v24
	v_add_f16_e32 v24, v30, v45
	;; [unrolled: 1-line block ×4, first 2 shown]
	v_fmamk_f16 v30, v29, 0x3aee, v22
	v_fmac_f16_e32 v22, 0xbaee, v29
	v_fmamk_f16 v29, v26, 0xbaee, v32
	v_fmac_f16_e32 v32, 0x3aee, v26
	v_fmamk_f16 v26, v35, 0x3aee, v27
	v_fmamk_f16 v31, v25, 0xbaee, v39
	v_fmac_f16_e32 v27, 0xbaee, v35
	v_fmac_f16_e32 v39, 0x3aee, v25
	v_add_f16_e32 v25, v16, v23
	v_add_f16_e32 v33, v24, v28
	v_sub_f16_e32 v16, v16, v23
	v_sub_f16_e32 v23, v24, v28
	v_mul_f16_e32 v24, 0x3aee, v31
	v_mul_f16_e32 v34, 0xbaee, v26
	v_mul_f16_e32 v28, -0.5, v27
	v_mul_f16_e32 v35, -0.5, v39
	v_pack_b32_f16 v16, v16, v23
	v_fmac_f16_e32 v24, 0.5, v26
	v_fmac_f16_e32 v34, 0.5, v31
	v_fmac_f16_e32 v28, 0x3aee, v39
	v_fmac_f16_e32 v35, 0xbaee, v27
	v_pack_b32_f16 v25, v25, v33
	v_add_f16_e32 v23, v30, v24
	v_add_f16_e32 v27, v29, v34
	;; [unrolled: 1-line block ×4, first 2 shown]
	v_sub_f16_e32 v24, v30, v24
	v_sub_f16_e32 v22, v22, v28
	;; [unrolled: 1-line block ×4, first 2 shown]
	v_pack_b32_f16 v23, v23, v27
	ds_write_b32 v14, v25
	v_pack_b32_f16 v25, v26, v31
	v_pack_b32_f16 v24, v24, v28
	;; [unrolled: 1-line block ×3, first 2 shown]
	ds_write_b32 v14, v16 offset:4800
	ds_write_b32 v14, v23 offset:1600
	;; [unrolled: 1-line block ×5, first 2 shown]
	s_and_saveexec_b32 s1, s0
	s_cbranch_execz .LBB0_21
; %bb.20:
	v_add_nc_u32_e32 v16, 0xffffff60, v6
	v_mov_b32_e32 v23, 0
	v_cndmask_b32_e64 v16, v16, v10, s0
	v_mul_i32_i24_e32 v22, 5, v16
	v_lshlrev_b64 v[22:23], 2, v[22:23]
	v_add_co_u32 v26, s0, s12, v22
	v_add_co_ci_u32_e64 v27, s0, s13, v23, s0
	s_clause 0x1
	global_load_dwordx4 v[22:25], v[26:27], off offset:1584
	global_load_dword v16, v[26:27], off offset:1600
	v_lshrrev_b32_e32 v26, 16, v13
	s_waitcnt vmcnt(1)
	v_mul_f16_sdwa v29, v18, v23 dst_sel:DWORD dst_unused:UNUSED_PAD src0_sel:DWORD src1_sel:WORD_1
	v_mul_f16_sdwa v30, v13, v25 dst_sel:DWORD dst_unused:UNUSED_PAD src0_sel:DWORD src1_sel:WORD_1
	;; [unrolled: 1-line block ×3, first 2 shown]
	s_waitcnt vmcnt(0)
	v_mul_f16_sdwa v33, v11, v16 dst_sel:DWORD dst_unused:UNUSED_PAD src0_sel:DWORD src1_sel:WORD_1
	v_mul_f16_sdwa v34, v3, v24 dst_sel:DWORD dst_unused:UNUSED_PAD src0_sel:DWORD src1_sel:WORD_1
	;; [unrolled: 1-line block ×7, first 2 shown]
	v_fmac_f16_e32 v29, v21, v23
	v_fmac_f16_e32 v30, v26, v25
	v_fma_f16 v3, v3, v24, -v32
	v_fma_f16 v7, v7, v16, -v33
	v_fmac_f16_e32 v34, v19, v24
	v_fmac_f16_e32 v35, v11, v16
	v_fma_f16 v18, v18, v23, -v27
	v_fma_f16 v13, v13, v25, -v28
	;; [unrolled: 1-line block ×3, first 2 shown]
	v_fmac_f16_e32 v36, v20, v22
	v_add_f16_e32 v16, v29, v30
	v_add_f16_e32 v19, v3, v7
	;; [unrolled: 1-line block ×3, first 2 shown]
	v_sub_f16_e32 v11, v18, v13
	v_sub_f16_e32 v20, v34, v35
	;; [unrolled: 1-line block ×3, first 2 shown]
	v_add_f16_e32 v23, v2, v29
	v_add_f16_e32 v24, v36, v34
	;; [unrolled: 1-line block ×5, first 2 shown]
	v_fma_f16 v2, -0.5, v16, v2
	v_fma_f16 v16, -0.5, v19, v17
	;; [unrolled: 1-line block ×3, first 2 shown]
	v_add_f16_e32 v19, v23, v30
	v_add_f16_e32 v22, v24, v35
	v_add_f16_e32 v13, v18, v13
	v_add_f16_e32 v3, v3, v7
	v_fmamk_f16 v18, v20, 0xbaee, v16
	v_fmamk_f16 v23, v21, 0x3aee, v17
	v_fmac_f16_e32 v17, 0xbaee, v21
	v_fmac_f16_e32 v16, 0x3aee, v20
	v_sub_f16_e32 v26, v29, v30
	v_fma_f16 v1, -0.5, v25, v1
	v_fmamk_f16 v7, v11, 0x3aee, v2
	v_fmac_f16_e32 v2, 0xbaee, v11
	v_sub_f16_e32 v11, v19, v22
	v_sub_f16_e32 v21, v13, v3
	v_add_f16_e32 v19, v19, v22
	v_add_f16_e32 v3, v13, v3
	v_mul_f16_e32 v13, -0.5, v23
	v_mul_f16_e32 v22, 0xbaee, v16
	v_mul_f16_e32 v25, 0x3aee, v17
	v_mul_f16_e32 v24, -0.5, v18
	v_fmamk_f16 v20, v26, 0xbaee, v1
	v_fmac_f16_e32 v1, 0x3aee, v26
	v_fmac_f16_e32 v13, 0xbaee, v18
	v_fmac_f16_e32 v22, 0.5, v17
	v_fmac_f16_e32 v25, 0.5, v16
	v_fmac_f16_e32 v24, 0x3aee, v23
	v_pack_b32_f16 v3, v3, v19
	v_sub_f16_e32 v16, v7, v13
	v_sub_f16_e32 v17, v2, v22
	v_add_f16_e32 v7, v7, v13
	v_add_f16_e32 v2, v2, v22
	;; [unrolled: 1-line block ×4, first 2 shown]
	v_sub_f16_e32 v1, v1, v25
	v_sub_f16_e32 v19, v20, v24
	v_pack_b32_f16 v11, v21, v11
	v_pack_b32_f16 v2, v13, v2
	ds_write_b32 v14, v3 offset:960
	v_pack_b32_f16 v3, v18, v7
	v_pack_b32_f16 v1, v1, v17
	v_pack_b32_f16 v7, v19, v16
	ds_write_b32 v14, v11 offset:5760
	ds_write_b32 v14, v2 offset:2560
	;; [unrolled: 1-line block ×5, first 2 shown]
.LBB0_21:
	s_or_b32 exec_lo, exec_lo, s1
	s_waitcnt lgkmcnt(0)
	s_barrier
	buffer_gl0_inv
	ds_read_b32 v11, v14
	v_lshlrev_b32_e32 v1, 2, v6
	s_add_u32 s1, s12, 0x2570
	s_addc_u32 s4, s13, 0
	s_mov_b32 s5, exec_lo
                                        ; implicit-def: $vgpr7
                                        ; implicit-def: $vgpr2
                                        ; implicit-def: $vgpr3
	v_sub_nc_u32_e32 v1, 0, v1
	v_cmpx_ne_u32_e32 0, v6
	s_xor_b32 s5, exec_lo, s5
	s_cbranch_execz .LBB0_23
; %bb.22:
	v_mov_b32_e32 v7, 0
	v_lshlrev_b64 v[2:3], 2, v[6:7]
	v_add_co_u32 v2, s0, s1, v2
	v_add_co_ci_u32_e64 v3, s0, s4, v3, s0
	global_load_dword v2, v[2:3], off
	ds_read_b32 v3, v1 offset:9600
	s_waitcnt lgkmcnt(0)
	v_pk_add_f16 v7, v11, v3 neg_lo:[0,1] neg_hi:[0,1]
	v_pk_add_f16 v3, v3, v11
	v_bfi_b32 v11, 0xffff, v7, v3
	v_bfi_b32 v3, 0xffff, v3, v7
	v_pk_mul_f16 v11, v11, 0.5 op_sel_hi:[1,0]
	v_pk_mul_f16 v13, v3, 0.5 op_sel_hi:[1,0]
	s_waitcnt vmcnt(0)
	v_pk_mul_f16 v7, v2, v11 op_sel:[1,0]
	v_pk_mul_f16 v11, v2, v11 op_sel_hi:[0,1]
	v_pk_fma_f16 v2, v3, 0.5, v7 op_sel_hi:[1,0,1]
	v_sub_f16_e32 v3, v13, v7
	v_sub_f16_sdwa v13, v7, v13 dst_sel:DWORD dst_unused:UNUSED_PAD src0_sel:WORD_1 src1_sel:WORD_1
	v_pk_add_f16 v16, v2, v11 op_sel:[0,1] op_sel_hi:[1,0]
	v_pk_add_f16 v17, v2, v11 op_sel:[0,1] op_sel_hi:[1,0] neg_lo:[0,1] neg_hi:[0,1]
	v_sub_f16_sdwa v2, v3, v11 dst_sel:DWORD dst_unused:UNUSED_PAD src0_sel:DWORD src1_sel:WORD_1
	v_sub_f16_e32 v3, v13, v11
                                        ; implicit-def: $vgpr11
	v_bfi_b32 v7, 0xffff, v16, v17
.LBB0_23:
	s_andn2_saveexec_b32 s0, s5
	s_cbranch_execz .LBB0_25
; %bb.24:
	v_mov_b32_e32 v3, 0
	s_waitcnt lgkmcnt(0)
	v_alignbit_b32 v2, s0, v11, 16
	ds_read_u16 v7, v3 offset:4802
	v_pk_add_f16 v13, v2, v11
	v_sub_f16_sdwa v2, v11, v11 dst_sel:DWORD dst_unused:UNUSED_PAD src0_sel:DWORD src1_sel:WORD_1
	s_waitcnt lgkmcnt(0)
	v_xor_b32_e32 v11, 0x8000, v7
	v_pack_b32_f16 v7, v13, 0
	ds_write_b16 v3, v11 offset:4802
.LBB0_25:
	s_or_b32 exec_lo, exec_lo, s0
	s_waitcnt lgkmcnt(0)
	v_mov_b32_e32 v11, 0
	v_lshlrev_b64 v[16:17], 2, v[10:11]
	v_mov_b32_e32 v13, v11
	v_add_nc_u32_e32 v10, 0x2d0, v6
	v_lshlrev_b64 v[12:13], 2, v[12:13]
	v_add_co_u32 v16, s0, s1, v16
	v_add_co_ci_u32_e64 v17, s0, s4, v17, s0
	v_add_co_u32 v12, s0, s1, v12
	global_load_dword v16, v[16:17], off
	v_add_co_ci_u32_e64 v13, s0, s4, v13, s0
	global_load_dword v17, v[12:13], off
	v_lshlrev_b64 v[12:13], 2, v[10:11]
	v_add_nc_u32_e32 v10, 0x3c0, v6
	v_add_co_u32 v12, s0, s1, v12
	v_add_co_ci_u32_e64 v13, s0, s4, v13, s0
	global_load_dword v18, v[12:13], off
	v_lshlrev_b64 v[12:13], 2, v[10:11]
	v_add_co_u32 v12, s0, s1, v12
	v_add_co_ci_u32_e64 v13, s0, s4, v13, s0
	global_load_dword v10, v[12:13], off
	ds_write_b16 v1, v3 offset:9602
	ds_write_b32 v14, v7
	ds_write_b16 v1, v2 offset:9600
	ds_read_b32 v2, v0
	ds_read_b32 v3, v1 offset:8640
	s_waitcnt lgkmcnt(0)
	v_pk_add_f16 v7, v2, v3 neg_lo:[0,1] neg_hi:[0,1]
	v_pk_add_f16 v2, v2, v3
	v_bfi_b32 v3, 0xffff, v7, v2
	v_bfi_b32 v2, 0xffff, v2, v7
	v_pk_mul_f16 v3, v3, 0.5 op_sel_hi:[1,0]
	v_pk_mul_f16 v2, v2, 0.5 op_sel_hi:[1,0]
	s_waitcnt vmcnt(3)
	v_pk_fma_f16 v7, v16, v3, v2 op_sel:[1,0,0]
	v_pk_mul_f16 v12, v16, v3 op_sel_hi:[0,1]
	v_pk_fma_f16 v13, v16, v3, v2 op_sel:[1,0,0] neg_lo:[1,0,0] neg_hi:[1,0,0]
	v_pk_fma_f16 v2, v16, v3, v2 op_sel:[1,0,0] neg_lo:[0,0,1] neg_hi:[0,0,1]
	v_pk_add_f16 v3, v7, v12 op_sel:[0,1] op_sel_hi:[1,0]
	v_pk_add_f16 v7, v7, v12 op_sel:[0,1] op_sel_hi:[1,0] neg_lo:[0,1] neg_hi:[0,1]
	v_pk_add_f16 v13, v13, v12 op_sel:[0,1] op_sel_hi:[1,0] neg_lo:[0,1] neg_hi:[0,1]
	;; [unrolled: 1-line block ×3, first 2 shown]
	v_bfi_b32 v3, 0xffff, v3, v7
	v_bfi_b32 v2, 0xffff, v13, v2
	ds_write_b32 v0, v3
	ds_write_b32 v1, v2 offset:8640
	ds_read_b32 v0, v15
	ds_read_b32 v2, v1 offset:7680
	s_waitcnt lgkmcnt(0)
	v_pk_add_f16 v3, v0, v2 neg_lo:[0,1] neg_hi:[0,1]
	v_pk_add_f16 v0, v0, v2
	v_bfi_b32 v2, 0xffff, v3, v0
	v_bfi_b32 v0, 0xffff, v0, v3
	v_pk_mul_f16 v2, v2, 0.5 op_sel_hi:[1,0]
	v_pk_mul_f16 v0, v0, 0.5 op_sel_hi:[1,0]
	s_waitcnt vmcnt(2)
	v_pk_mul_f16 v7, v17, v2 op_sel_hi:[0,1]
	v_pk_fma_f16 v3, v17, v2, v0 op_sel:[1,0,0]
	v_pk_fma_f16 v12, v17, v2, v0 op_sel:[1,0,0] neg_lo:[1,0,0] neg_hi:[1,0,0]
	v_pk_fma_f16 v0, v17, v2, v0 op_sel:[1,0,0] neg_lo:[0,0,1] neg_hi:[0,0,1]
	v_pk_add_f16 v2, v3, v7 op_sel:[0,1] op_sel_hi:[1,0]
	v_pk_add_f16 v3, v3, v7 op_sel:[0,1] op_sel_hi:[1,0] neg_lo:[0,1] neg_hi:[0,1]
	v_pk_add_f16 v12, v12, v7 op_sel:[0,1] op_sel_hi:[1,0] neg_lo:[0,1] neg_hi:[0,1]
	;; [unrolled: 1-line block ×3, first 2 shown]
	v_bfi_b32 v2, 0xffff, v2, v3
	v_bfi_b32 v0, 0xffff, v12, v0
	ds_write_b32 v15, v2
	ds_write_b32 v1, v0 offset:7680
	ds_read_b32 v0, v14 offset:2880
	ds_read_b32 v2, v1 offset:6720
	s_waitcnt lgkmcnt(0)
	v_pk_add_f16 v3, v0, v2 neg_lo:[0,1] neg_hi:[0,1]
	v_pk_add_f16 v0, v0, v2
	v_bfi_b32 v2, 0xffff, v3, v0
	v_bfi_b32 v0, 0xffff, v0, v3
	v_pk_mul_f16 v2, v2, 0.5 op_sel_hi:[1,0]
	v_pk_mul_f16 v7, v0, 0.5 op_sel_hi:[1,0]
	s_waitcnt vmcnt(1)
	v_pk_mul_f16 v3, v18, v2 op_sel:[1,0]
	v_pk_mul_f16 v2, v18, v2 op_sel_hi:[0,1]
	v_pk_fma_f16 v0, v0, 0.5, v3 op_sel_hi:[1,0,1]
	v_sub_f16_sdwa v12, v3, v7 dst_sel:DWORD dst_unused:UNUSED_PAD src0_sel:WORD_1 src1_sel:WORD_1
	v_sub_f16_e32 v3, v7, v3
	v_pk_add_f16 v13, v0, v2 op_sel:[0,1] op_sel_hi:[1,0]
	v_pk_add_f16 v0, v0, v2 op_sel:[0,1] op_sel_hi:[1,0] neg_lo:[0,1] neg_hi:[0,1]
	v_sub_f16_e32 v7, v12, v2
	v_sub_f16_sdwa v2, v3, v2 dst_sel:DWORD dst_unused:UNUSED_PAD src0_sel:DWORD src1_sel:WORD_1
	v_bfi_b32 v0, 0xffff, v13, v0
	ds_write_b16 v1, v7 offset:6722
	ds_write_b32 v14, v0 offset:2880
	ds_write_b16 v1, v2 offset:6720
	ds_read_b32 v0, v14 offset:3840
	ds_read_b32 v2, v1 offset:5760
	s_waitcnt lgkmcnt(0)
	v_pk_add_f16 v3, v0, v2 neg_lo:[0,1] neg_hi:[0,1]
	v_pk_add_f16 v0, v0, v2
	v_bfi_b32 v2, 0xffff, v3, v0
	v_bfi_b32 v0, 0xffff, v0, v3
	v_pk_mul_f16 v2, v2, 0.5 op_sel_hi:[1,0]
	v_pk_mul_f16 v0, v0, 0.5 op_sel_hi:[1,0]
	s_waitcnt vmcnt(0)
	v_pk_mul_f16 v7, v10, v2 op_sel_hi:[0,1]
	v_pk_fma_f16 v3, v10, v2, v0 op_sel:[1,0,0]
	v_pk_fma_f16 v12, v10, v2, v0 op_sel:[1,0,0] neg_lo:[1,0,0] neg_hi:[1,0,0]
	v_pk_fma_f16 v0, v10, v2, v0 op_sel:[1,0,0] neg_lo:[0,0,1] neg_hi:[0,0,1]
	v_pk_add_f16 v2, v3, v7 op_sel:[0,1] op_sel_hi:[1,0]
	v_pk_add_f16 v3, v3, v7 op_sel:[0,1] op_sel_hi:[1,0] neg_lo:[0,1] neg_hi:[0,1]
	v_pk_add_f16 v10, v12, v7 op_sel:[0,1] op_sel_hi:[1,0] neg_lo:[0,1] neg_hi:[0,1]
	;; [unrolled: 1-line block ×3, first 2 shown]
	v_bfi_b32 v2, 0xffff, v2, v3
	v_bfi_b32 v0, 0xffff, v10, v0
	ds_write_b32 v14, v2 offset:3840
	ds_write_b32 v1, v0 offset:5760
	s_waitcnt lgkmcnt(0)
	s_barrier
	buffer_gl0_inv
	s_and_saveexec_b32 s0, vcc_lo
	s_cbranch_execz .LBB0_28
; %bb.26:
	v_mul_lo_u32 v2, s3, v8
	v_mul_lo_u32 v3, s2, v9
	v_mad_u64_u32 v[0:1], null, s2, v8, 0
	v_lshl_add_u32 v9, v6, 2, 0
	v_mov_b32_e32 v7, v11
	v_add_nc_u32_e32 v10, 0xf0, v6
	v_add_nc_u32_e32 v14, 0x780, v9
	v_add3_u32 v1, v1, v3, v2
	v_lshlrev_b64 v[2:3], 2, v[4:5]
	v_lshlrev_b64 v[7:8], 2, v[6:7]
	ds_read2_b32 v[4:5], v9 offset1:240
	v_lshlrev_b64 v[12:13], 2, v[10:11]
	v_lshlrev_b64 v[0:1], 2, v[0:1]
	v_add_nc_u32_e32 v10, 0x1e0, v6
	ds_read2_b32 v[14:15], v14 offset1:240
	v_add_nc_u32_e32 v18, 0xf00, v9
	v_add_co_u32 v0, vcc_lo, s10, v0
	v_add_co_ci_u32_e32 v1, vcc_lo, s11, v1, vcc_lo
	v_lshlrev_b64 v[16:17], 2, v[10:11]
	v_add_co_u32 v0, vcc_lo, v0, v2
	v_add_co_ci_u32_e32 v1, vcc_lo, v1, v3, vcc_lo
	v_add_nc_u32_e32 v10, 0x2d0, v6
	v_add_co_u32 v2, vcc_lo, v0, v7
	v_add_co_ci_u32_e32 v3, vcc_lo, v1, v8, vcc_lo
	v_add_co_u32 v7, vcc_lo, v0, v12
	v_add_co_ci_u32_e32 v8, vcc_lo, v1, v13, vcc_lo
	v_lshlrev_b64 v[12:13], 2, v[10:11]
	v_add_nc_u32_e32 v10, 0x3c0, v6
	ds_read2_b32 v[18:19], v18 offset1:240
	v_add_co_u32 v16, vcc_lo, v0, v16
	v_add_co_ci_u32_e32 v17, vcc_lo, v1, v17, vcc_lo
	v_lshlrev_b64 v[20:21], 2, v[10:11]
	v_add_nc_u32_e32 v10, 0x4b0, v6
	v_add_co_u32 v12, vcc_lo, v0, v12
	v_add_co_ci_u32_e32 v13, vcc_lo, v1, v13, vcc_lo
	s_waitcnt lgkmcnt(2)
	global_store_dword v[2:3], v4, off
	global_store_dword v[7:8], v5, off
	s_waitcnt lgkmcnt(1)
	global_store_dword v[16:17], v14, off
	global_store_dword v[12:13], v15, off
	v_lshlrev_b64 v[2:3], 2, v[10:11]
	v_add_nc_u32_e32 v10, 0x5a0, v6
	v_add_co_u32 v4, vcc_lo, v0, v20
	v_add_co_ci_u32_e32 v5, vcc_lo, v1, v21, vcc_lo
	v_lshlrev_b64 v[7:8], 2, v[10:11]
	v_add_nc_u32_e32 v10, 0x690, v6
	v_add_co_u32 v2, vcc_lo, v0, v2
	v_add_co_ci_u32_e32 v3, vcc_lo, v1, v3, vcc_lo
	v_add_nc_u32_e32 v12, 0x1680, v9
	s_waitcnt lgkmcnt(0)
	global_store_dword v[4:5], v18, off
	v_lshlrev_b64 v[4:5], 2, v[10:11]
	v_add_nc_u32_e32 v10, 0x780, v6
	v_add_nc_u32_e32 v9, 0x1e00, v9
	global_store_dword v[2:3], v19, off
	ds_read2_b32 v[2:3], v12 offset1:240
	v_add_co_u32 v7, vcc_lo, v0, v7
	v_lshlrev_b64 v[14:15], 2, v[10:11]
	v_add_nc_u32_e32 v10, 0x870, v6
	ds_read2_b32 v[12:13], v9 offset1:240
	v_add_co_ci_u32_e32 v8, vcc_lo, v1, v8, vcc_lo
	v_add_co_u32 v4, vcc_lo, v0, v4
	v_lshlrev_b64 v[9:10], 2, v[10:11]
	v_add_co_ci_u32_e32 v5, vcc_lo, v1, v5, vcc_lo
	v_add_co_u32 v14, vcc_lo, v0, v14
	v_add_co_ci_u32_e32 v15, vcc_lo, v1, v15, vcc_lo
	v_add_co_u32 v9, vcc_lo, v0, v9
	v_add_co_ci_u32_e32 v10, vcc_lo, v1, v10, vcc_lo
	v_cmp_eq_u32_e32 vcc_lo, 0xef, v6
	s_waitcnt lgkmcnt(1)
	global_store_dword v[7:8], v2, off
	global_store_dword v[4:5], v3, off
	s_waitcnt lgkmcnt(0)
	global_store_dword v[14:15], v12, off
	global_store_dword v[9:10], v13, off
	s_and_b32 exec_lo, exec_lo, vcc_lo
	s_cbranch_execz .LBB0_28
; %bb.27:
	v_mov_b32_e32 v2, 0
	v_add_co_u32 v0, vcc_lo, 0x2000, v0
	v_add_co_ci_u32_e32 v1, vcc_lo, 0, v1, vcc_lo
	ds_read_b32 v2, v2 offset:9600
	s_waitcnt lgkmcnt(0)
	global_store_dword v[0:1], v2, off offset:1408
.LBB0_28:
	s_endpgm
	.section	.rodata,"a",@progbits
	.p2align	6, 0x0
	.amdhsa_kernel fft_rtc_fwd_len2400_factors_4_10_10_6_wgs_240_tpt_240_halfLds_half_op_CI_CI_unitstride_sbrr_R2C_dirReg
		.amdhsa_group_segment_fixed_size 0
		.amdhsa_private_segment_fixed_size 0
		.amdhsa_kernarg_size 104
		.amdhsa_user_sgpr_count 6
		.amdhsa_user_sgpr_private_segment_buffer 1
		.amdhsa_user_sgpr_dispatch_ptr 0
		.amdhsa_user_sgpr_queue_ptr 0
		.amdhsa_user_sgpr_kernarg_segment_ptr 1
		.amdhsa_user_sgpr_dispatch_id 0
		.amdhsa_user_sgpr_flat_scratch_init 0
		.amdhsa_user_sgpr_private_segment_size 0
		.amdhsa_wavefront_size32 1
		.amdhsa_uses_dynamic_stack 0
		.amdhsa_system_sgpr_private_segment_wavefront_offset 0
		.amdhsa_system_sgpr_workgroup_id_x 1
		.amdhsa_system_sgpr_workgroup_id_y 0
		.amdhsa_system_sgpr_workgroup_id_z 0
		.amdhsa_system_sgpr_workgroup_info 0
		.amdhsa_system_vgpr_workitem_id 0
		.amdhsa_next_free_vgpr 64
		.amdhsa_next_free_sgpr 27
		.amdhsa_reserve_vcc 1
		.amdhsa_reserve_flat_scratch 0
		.amdhsa_float_round_mode_32 0
		.amdhsa_float_round_mode_16_64 0
		.amdhsa_float_denorm_mode_32 3
		.amdhsa_float_denorm_mode_16_64 3
		.amdhsa_dx10_clamp 1
		.amdhsa_ieee_mode 1
		.amdhsa_fp16_overflow 0
		.amdhsa_workgroup_processor_mode 1
		.amdhsa_memory_ordered 1
		.amdhsa_forward_progress 0
		.amdhsa_shared_vgpr_count 0
		.amdhsa_exception_fp_ieee_invalid_op 0
		.amdhsa_exception_fp_denorm_src 0
		.amdhsa_exception_fp_ieee_div_zero 0
		.amdhsa_exception_fp_ieee_overflow 0
		.amdhsa_exception_fp_ieee_underflow 0
		.amdhsa_exception_fp_ieee_inexact 0
		.amdhsa_exception_int_div_zero 0
	.end_amdhsa_kernel
	.text
.Lfunc_end0:
	.size	fft_rtc_fwd_len2400_factors_4_10_10_6_wgs_240_tpt_240_halfLds_half_op_CI_CI_unitstride_sbrr_R2C_dirReg, .Lfunc_end0-fft_rtc_fwd_len2400_factors_4_10_10_6_wgs_240_tpt_240_halfLds_half_op_CI_CI_unitstride_sbrr_R2C_dirReg
                                        ; -- End function
	.section	.AMDGPU.csdata,"",@progbits
; Kernel info:
; codeLenInByte = 8344
; NumSgprs: 29
; NumVgprs: 64
; ScratchSize: 0
; MemoryBound: 0
; FloatMode: 240
; IeeeMode: 1
; LDSByteSize: 0 bytes/workgroup (compile time only)
; SGPRBlocks: 3
; VGPRBlocks: 7
; NumSGPRsForWavesPerEU: 29
; NumVGPRsForWavesPerEU: 64
; Occupancy: 16
; WaveLimiterHint : 1
; COMPUTE_PGM_RSRC2:SCRATCH_EN: 0
; COMPUTE_PGM_RSRC2:USER_SGPR: 6
; COMPUTE_PGM_RSRC2:TRAP_HANDLER: 0
; COMPUTE_PGM_RSRC2:TGID_X_EN: 1
; COMPUTE_PGM_RSRC2:TGID_Y_EN: 0
; COMPUTE_PGM_RSRC2:TGID_Z_EN: 0
; COMPUTE_PGM_RSRC2:TIDIG_COMP_CNT: 0
	.text
	.p2alignl 6, 3214868480
	.fill 48, 4, 3214868480
	.type	__hip_cuid_6be682f298d56742,@object ; @__hip_cuid_6be682f298d56742
	.section	.bss,"aw",@nobits
	.globl	__hip_cuid_6be682f298d56742
__hip_cuid_6be682f298d56742:
	.byte	0                               ; 0x0
	.size	__hip_cuid_6be682f298d56742, 1

	.ident	"AMD clang version 19.0.0git (https://github.com/RadeonOpenCompute/llvm-project roc-6.4.0 25133 c7fe45cf4b819c5991fe208aaa96edf142730f1d)"
	.section	".note.GNU-stack","",@progbits
	.addrsig
	.addrsig_sym __hip_cuid_6be682f298d56742
	.amdgpu_metadata
---
amdhsa.kernels:
  - .args:
      - .actual_access:  read_only
        .address_space:  global
        .offset:         0
        .size:           8
        .value_kind:     global_buffer
      - .offset:         8
        .size:           8
        .value_kind:     by_value
      - .actual_access:  read_only
        .address_space:  global
        .offset:         16
        .size:           8
        .value_kind:     global_buffer
      - .actual_access:  read_only
        .address_space:  global
        .offset:         24
        .size:           8
        .value_kind:     global_buffer
      - .actual_access:  read_only
        .address_space:  global
        .offset:         32
        .size:           8
        .value_kind:     global_buffer
      - .offset:         40
        .size:           8
        .value_kind:     by_value
      - .actual_access:  read_only
        .address_space:  global
        .offset:         48
        .size:           8
        .value_kind:     global_buffer
      - .actual_access:  read_only
        .address_space:  global
        .offset:         56
        .size:           8
        .value_kind:     global_buffer
      - .offset:         64
        .size:           4
        .value_kind:     by_value
      - .actual_access:  read_only
        .address_space:  global
        .offset:         72
        .size:           8
        .value_kind:     global_buffer
      - .actual_access:  read_only
        .address_space:  global
        .offset:         80
        .size:           8
        .value_kind:     global_buffer
      - .actual_access:  read_only
        .address_space:  global
        .offset:         88
        .size:           8
        .value_kind:     global_buffer
      - .actual_access:  write_only
        .address_space:  global
        .offset:         96
        .size:           8
        .value_kind:     global_buffer
    .group_segment_fixed_size: 0
    .kernarg_segment_align: 8
    .kernarg_segment_size: 104
    .language:       OpenCL C
    .language_version:
      - 2
      - 0
    .max_flat_workgroup_size: 240
    .name:           fft_rtc_fwd_len2400_factors_4_10_10_6_wgs_240_tpt_240_halfLds_half_op_CI_CI_unitstride_sbrr_R2C_dirReg
    .private_segment_fixed_size: 0
    .sgpr_count:     29
    .sgpr_spill_count: 0
    .symbol:         fft_rtc_fwd_len2400_factors_4_10_10_6_wgs_240_tpt_240_halfLds_half_op_CI_CI_unitstride_sbrr_R2C_dirReg.kd
    .uniform_work_group_size: 1
    .uses_dynamic_stack: false
    .vgpr_count:     64
    .vgpr_spill_count: 0
    .wavefront_size: 32
    .workgroup_processor_mode: 1
amdhsa.target:   amdgcn-amd-amdhsa--gfx1030
amdhsa.version:
  - 1
  - 2
...

	.end_amdgpu_metadata
